;; amdgpu-corpus repo=ROCm/rocFFT kind=compiled arch=gfx906 opt=O3
	.text
	.amdgcn_target "amdgcn-amd-amdhsa--gfx906"
	.amdhsa_code_object_version 6
	.protected	fft_rtc_back_len1820_factors_10_13_7_2_wgs_182_tpt_182_halfLds_dp_ip_CI_unitstride_sbrr_C2R_dirReg ; -- Begin function fft_rtc_back_len1820_factors_10_13_7_2_wgs_182_tpt_182_halfLds_dp_ip_CI_unitstride_sbrr_C2R_dirReg
	.globl	fft_rtc_back_len1820_factors_10_13_7_2_wgs_182_tpt_182_halfLds_dp_ip_CI_unitstride_sbrr_C2R_dirReg
	.p2align	8
	.type	fft_rtc_back_len1820_factors_10_13_7_2_wgs_182_tpt_182_halfLds_dp_ip_CI_unitstride_sbrr_C2R_dirReg,@function
fft_rtc_back_len1820_factors_10_13_7_2_wgs_182_tpt_182_halfLds_dp_ip_CI_unitstride_sbrr_C2R_dirReg: ; @fft_rtc_back_len1820_factors_10_13_7_2_wgs_182_tpt_182_halfLds_dp_ip_CI_unitstride_sbrr_C2R_dirReg
; %bb.0:
	s_mov_b64 s[50:51], s[2:3]
	s_mov_b64 s[48:49], s[0:1]
	s_load_dwordx2 s[12:13], s[4:5], 0x50
	s_load_dwordx4 s[8:11], s[4:5], 0x0
	s_load_dwordx2 s[2:3], s[4:5], 0x18
	v_mul_u32_u24_e32 v1, 0x169, v0
	s_add_u32 s48, s48, s7
	v_add_u32_sdwa v5, s6, v1 dst_sel:DWORD dst_unused:UNUSED_PAD src0_sel:DWORD src1_sel:WORD_1
	s_waitcnt lgkmcnt(0)
	v_cmp_lt_u64_e64 s[0:1], s[10:11], 2
	v_mov_b32_e32 v3, 0
	v_mov_b32_e32 v1, 0
	s_addc_u32 s49, s49, 0
	v_mov_b32_e32 v6, v3
	s_and_b64 vcc, exec, s[0:1]
	v_mov_b32_e32 v2, 0
	s_cbranch_vccnz .LBB0_8
; %bb.1:
	s_load_dwordx2 s[0:1], s[4:5], 0x10
	s_add_u32 s6, s2, 8
	s_addc_u32 s7, s3, 0
	v_mov_b32_e32 v1, 0
	v_mov_b32_e32 v2, 0
	s_waitcnt lgkmcnt(0)
	s_add_u32 s14, s0, 8
	s_addc_u32 s15, s1, 0
	s_mov_b64 s[16:17], 1
.LBB0_2:                                ; =>This Inner Loop Header: Depth=1
	s_load_dwordx2 s[18:19], s[14:15], 0x0
                                        ; implicit-def: $vgpr7_vgpr8
	s_waitcnt lgkmcnt(0)
	v_or_b32_e32 v4, s19, v6
	v_cmp_ne_u64_e32 vcc, 0, v[3:4]
	s_and_saveexec_b64 s[0:1], vcc
	s_xor_b64 s[20:21], exec, s[0:1]
	s_cbranch_execz .LBB0_4
; %bb.3:                                ;   in Loop: Header=BB0_2 Depth=1
	v_cvt_f32_u32_e32 v4, s18
	v_cvt_f32_u32_e32 v7, s19
	s_sub_u32 s0, 0, s18
	s_subb_u32 s1, 0, s19
	v_mac_f32_e32 v4, 0x4f800000, v7
	v_rcp_f32_e32 v4, v4
	v_mul_f32_e32 v4, 0x5f7ffffc, v4
	v_mul_f32_e32 v7, 0x2f800000, v4
	v_trunc_f32_e32 v7, v7
	v_mac_f32_e32 v4, 0xcf800000, v7
	v_cvt_u32_f32_e32 v7, v7
	v_cvt_u32_f32_e32 v4, v4
	v_mul_lo_u32 v8, s0, v7
	v_mul_hi_u32 v9, s0, v4
	v_mul_lo_u32 v11, s1, v4
	v_mul_lo_u32 v10, s0, v4
	v_add_u32_e32 v8, v9, v8
	v_add_u32_e32 v8, v8, v11
	v_mul_hi_u32 v9, v4, v10
	v_mul_lo_u32 v11, v4, v8
	v_mul_hi_u32 v13, v4, v8
	v_mul_hi_u32 v12, v7, v10
	v_mul_lo_u32 v10, v7, v10
	v_mul_hi_u32 v14, v7, v8
	v_add_co_u32_e32 v9, vcc, v9, v11
	v_addc_co_u32_e32 v11, vcc, 0, v13, vcc
	v_mul_lo_u32 v8, v7, v8
	v_add_co_u32_e32 v9, vcc, v9, v10
	v_addc_co_u32_e32 v9, vcc, v11, v12, vcc
	v_addc_co_u32_e32 v10, vcc, 0, v14, vcc
	v_add_co_u32_e32 v8, vcc, v9, v8
	v_addc_co_u32_e32 v9, vcc, 0, v10, vcc
	v_add_co_u32_e32 v4, vcc, v4, v8
	v_addc_co_u32_e32 v7, vcc, v7, v9, vcc
	v_mul_lo_u32 v8, s0, v7
	v_mul_hi_u32 v9, s0, v4
	v_mul_lo_u32 v10, s1, v4
	v_mul_lo_u32 v11, s0, v4
	v_add_u32_e32 v8, v9, v8
	v_add_u32_e32 v8, v8, v10
	v_mul_lo_u32 v12, v4, v8
	v_mul_hi_u32 v13, v4, v11
	v_mul_hi_u32 v14, v4, v8
	v_mul_hi_u32 v10, v7, v11
	v_mul_lo_u32 v11, v7, v11
	v_mul_hi_u32 v9, v7, v8
	v_add_co_u32_e32 v12, vcc, v13, v12
	v_addc_co_u32_e32 v13, vcc, 0, v14, vcc
	v_mul_lo_u32 v8, v7, v8
	v_add_co_u32_e32 v11, vcc, v12, v11
	v_addc_co_u32_e32 v10, vcc, v13, v10, vcc
	v_addc_co_u32_e32 v9, vcc, 0, v9, vcc
	v_add_co_u32_e32 v8, vcc, v10, v8
	v_addc_co_u32_e32 v9, vcc, 0, v9, vcc
	v_add_co_u32_e32 v4, vcc, v4, v8
	v_addc_co_u32_e32 v9, vcc, v7, v9, vcc
	v_mad_u64_u32 v[7:8], s[0:1], v5, v9, 0
	v_mul_hi_u32 v10, v5, v4
	v_add_co_u32_e32 v11, vcc, v10, v7
	v_addc_co_u32_e32 v12, vcc, 0, v8, vcc
	v_mad_u64_u32 v[7:8], s[0:1], v6, v4, 0
	v_mad_u64_u32 v[9:10], s[0:1], v6, v9, 0
	v_add_co_u32_e32 v4, vcc, v11, v7
	v_addc_co_u32_e32 v4, vcc, v12, v8, vcc
	v_addc_co_u32_e32 v7, vcc, 0, v10, vcc
	v_add_co_u32_e32 v4, vcc, v4, v9
	v_addc_co_u32_e32 v9, vcc, 0, v7, vcc
	v_mul_lo_u32 v10, s19, v4
	v_mul_lo_u32 v11, s18, v9
	v_mad_u64_u32 v[7:8], s[0:1], s18, v4, 0
	v_add3_u32 v8, v8, v11, v10
	v_sub_u32_e32 v10, v6, v8
	v_mov_b32_e32 v11, s19
	v_sub_co_u32_e32 v7, vcc, v5, v7
	v_subb_co_u32_e64 v10, s[0:1], v10, v11, vcc
	v_subrev_co_u32_e64 v11, s[0:1], s18, v7
	v_subbrev_co_u32_e64 v10, s[0:1], 0, v10, s[0:1]
	v_cmp_le_u32_e64 s[0:1], s19, v10
	v_cndmask_b32_e64 v12, 0, -1, s[0:1]
	v_cmp_le_u32_e64 s[0:1], s18, v11
	v_cndmask_b32_e64 v11, 0, -1, s[0:1]
	v_cmp_eq_u32_e64 s[0:1], s19, v10
	v_cndmask_b32_e64 v10, v12, v11, s[0:1]
	v_add_co_u32_e64 v11, s[0:1], 2, v4
	v_addc_co_u32_e64 v12, s[0:1], 0, v9, s[0:1]
	v_add_co_u32_e64 v13, s[0:1], 1, v4
	v_addc_co_u32_e64 v14, s[0:1], 0, v9, s[0:1]
	v_subb_co_u32_e32 v8, vcc, v6, v8, vcc
	v_cmp_ne_u32_e64 s[0:1], 0, v10
	v_cmp_le_u32_e32 vcc, s19, v8
	v_cndmask_b32_e64 v10, v14, v12, s[0:1]
	v_cndmask_b32_e64 v12, 0, -1, vcc
	v_cmp_le_u32_e32 vcc, s18, v7
	v_cndmask_b32_e64 v7, 0, -1, vcc
	v_cmp_eq_u32_e32 vcc, s19, v8
	v_cndmask_b32_e32 v7, v12, v7, vcc
	v_cmp_ne_u32_e32 vcc, 0, v7
	v_cndmask_b32_e64 v7, v13, v11, s[0:1]
	v_cndmask_b32_e32 v8, v9, v10, vcc
	v_cndmask_b32_e32 v7, v4, v7, vcc
.LBB0_4:                                ;   in Loop: Header=BB0_2 Depth=1
	s_andn2_saveexec_b64 s[0:1], s[20:21]
	s_cbranch_execz .LBB0_6
; %bb.5:                                ;   in Loop: Header=BB0_2 Depth=1
	v_cvt_f32_u32_e32 v4, s18
	s_sub_i32 s20, 0, s18
	v_rcp_iflag_f32_e32 v4, v4
	v_mul_f32_e32 v4, 0x4f7ffffe, v4
	v_cvt_u32_f32_e32 v4, v4
	v_mul_lo_u32 v7, s20, v4
	v_mul_hi_u32 v7, v4, v7
	v_add_u32_e32 v4, v4, v7
	v_mul_hi_u32 v4, v5, v4
	v_mul_lo_u32 v7, v4, s18
	v_add_u32_e32 v8, 1, v4
	v_sub_u32_e32 v7, v5, v7
	v_subrev_u32_e32 v9, s18, v7
	v_cmp_le_u32_e32 vcc, s18, v7
	v_cndmask_b32_e32 v7, v7, v9, vcc
	v_cndmask_b32_e32 v4, v4, v8, vcc
	v_add_u32_e32 v8, 1, v4
	v_cmp_le_u32_e32 vcc, s18, v7
	v_cndmask_b32_e32 v7, v4, v8, vcc
	v_mov_b32_e32 v8, v3
.LBB0_6:                                ;   in Loop: Header=BB0_2 Depth=1
	s_or_b64 exec, exec, s[0:1]
	v_mul_lo_u32 v4, v8, s18
	v_mul_lo_u32 v11, v7, s19
	v_mad_u64_u32 v[9:10], s[0:1], v7, s18, 0
	s_load_dwordx2 s[0:1], s[6:7], 0x0
	s_add_u32 s16, s16, 1
	v_add3_u32 v4, v10, v11, v4
	v_sub_co_u32_e32 v5, vcc, v5, v9
	v_subb_co_u32_e32 v4, vcc, v6, v4, vcc
	s_waitcnt lgkmcnt(0)
	v_mul_lo_u32 v4, s0, v4
	v_mul_lo_u32 v6, s1, v5
	v_mad_u64_u32 v[1:2], s[0:1], s0, v5, v[1:2]
	s_addc_u32 s17, s17, 0
	s_add_u32 s6, s6, 8
	v_add3_u32 v2, v6, v2, v4
	v_mov_b32_e32 v4, s10
	v_mov_b32_e32 v5, s11
	s_addc_u32 s7, s7, 0
	v_cmp_ge_u64_e32 vcc, s[16:17], v[4:5]
	s_add_u32 s14, s14, 8
	s_addc_u32 s15, s15, 0
	s_cbranch_vccnz .LBB0_9
; %bb.7:                                ;   in Loop: Header=BB0_2 Depth=1
	v_mov_b32_e32 v5, v7
	v_mov_b32_e32 v6, v8
	s_branch .LBB0_2
.LBB0_8:
	v_mov_b32_e32 v8, v6
	v_mov_b32_e32 v7, v5
.LBB0_9:
	s_lshl_b64 s[0:1], s[10:11], 3
	s_add_u32 s0, s2, s0
	s_addc_u32 s1, s3, s1
	s_load_dwordx2 s[2:3], s[0:1], 0x0
	s_load_dwordx2 s[6:7], s[4:5], 0x20
	s_waitcnt lgkmcnt(0)
	v_mad_u64_u32 v[1:2], s[0:1], s2, v7, v[1:2]
	s_mov_b32 s0, 0x1681682
	v_mul_lo_u32 v3, s2, v8
	v_mul_lo_u32 v4, s3, v7
	v_mul_hi_u32 v5, v0, s0
	v_cmp_gt_u64_e64 s[0:1], s[6:7], v[7:8]
	v_add3_u32 v2, v4, v2, v3
	v_mul_u32_u24_e32 v3, 0xb6, v5
	v_sub_u32_e32 v4, v0, v3
	v_lshlrev_b64 v[0:1], 4, v[1:2]
	v_mov_b32_e32 v5, 0
	v_mov_b32_e32 v58, v4
	buffer_store_dword v0, off, s[48:51], 0 ; 4-byte Folded Spill
	s_nop 0
	buffer_store_dword v1, off, s[48:51], 0 offset:4 ; 4-byte Folded Spill
	s_and_saveexec_b64 s[2:3], s[0:1]
	s_cbranch_execz .LBB0_13
; %bb.10:
	buffer_load_dword v1, off, s[48:51], 0  ; 4-byte Folded Reload
	buffer_load_dword v2, off, s[48:51], 0 offset:4 ; 4-byte Folded Reload
	v_mov_b32_e32 v0, s13
	s_movk_i32 s4, 0xb5
	s_waitcnt vmcnt(1)
	v_add_co_u32_e32 v3, vcc, s12, v1
	s_waitcnt vmcnt(0)
	v_addc_co_u32_e32 v2, vcc, v0, v2, vcc
	v_lshlrev_b64 v[0:1], 4, v[4:5]
	v_add_co_u32_e32 v0, vcc, v3, v0
	v_addc_co_u32_e32 v1, vcc, v2, v1, vcc
	v_add_co_u32_e32 v22, vcc, 0x1000, v0
	v_addc_co_u32_e32 v23, vcc, 0, v1, vcc
	;; [unrolled: 2-line block ×6, first 2 shown]
	global_load_dwordx4 v[6:9], v[0:1], off
	global_load_dwordx4 v[10:13], v[0:1], off offset:2912
	v_add_co_u32_e32 v0, vcc, 0x6000, v0
	global_load_dwordx4 v[14:17], v[22:23], off offset:1728
	global_load_dwordx4 v[18:21], v[30:31], off offset:544
	s_nop 0
	global_load_dwordx4 v[22:25], v[30:31], off offset:3456
	global_load_dwordx4 v[26:29], v[32:33], off offset:2272
	v_addc_co_u32_e32 v1, vcc, 0, v1, vcc
	global_load_dwordx4 v[30:33], v[46:47], off offset:1088
	global_load_dwordx4 v[34:37], v[46:47], off offset:4000
	;; [unrolled: 1-line block ×4, first 2 shown]
	v_lshl_add_u32 v0, v4, 4, 0
	v_cmp_eq_u32_e32 vcc, s4, v4
	s_waitcnt vmcnt(9)
	ds_write_b128 v0, v[6:9]
	s_waitcnt vmcnt(8)
	ds_write_b128 v0, v[10:13] offset:2912
	s_waitcnt vmcnt(7)
	ds_write_b128 v0, v[14:17] offset:5824
	;; [unrolled: 2-line block ×9, first 2 shown]
	v_mov_b32_e32 v0, v4
	v_mov_b32_e32 v1, v5
	s_and_saveexec_b64 s[4:5], vcc
	s_cbranch_execz .LBB0_12
; %bb.11:
	v_add_co_u32_e32 v0, vcc, 0x7000, v3
	v_addc_co_u32_e32 v1, vcc, 0, v2, vcc
	global_load_dwordx4 v[2:5], v[0:1], off offset:448
	v_mov_b32_e32 v6, 0
	v_mov_b32_e32 v0, 0xb5
	;; [unrolled: 1-line block ×3, first 2 shown]
	s_waitcnt vmcnt(0)
	ds_write_b128 v6, v[2:5] offset:29120
	v_mov_b32_e32 v4, 0xb5
.LBB0_12:
	s_or_b64 exec, exec, s[4:5]
	v_mov_b32_e32 v58, v4
	v_mov_b32_e32 v5, v1
	;; [unrolled: 1-line block ×3, first 2 shown]
.LBB0_13:
	s_or_b64 exec, exec, s[2:3]
	v_lshlrev_b32_e32 v0, 4, v58
	v_add_u32_e32 v252, 0, v0
	s_waitcnt vmcnt(0) lgkmcnt(0)
	s_barrier
	v_sub_u32_e32 v10, 0, v0
	ds_read_b64 v[6:7], v252
	ds_read_b64 v[8:9], v10 offset:29120
	s_add_u32 s4, s8, 0x7120
	v_lshlrev_b64 v[60:61], 4, v[4:5]
	s_addc_u32 s5, s9, 0
	v_cmp_ne_u32_e32 vcc, 0, v58
	s_waitcnt lgkmcnt(0)
	v_add_f64 v[0:1], v[6:7], v[8:9]
	v_add_f64 v[2:3], v[6:7], -v[8:9]
	s_and_saveexec_b64 s[2:3], vcc
	s_xor_b64 s[2:3], exec, s[2:3]
	s_cbranch_execz .LBB0_15
; %bb.14:
	v_mov_b32_e32 v1, s5
	v_add_co_u32_e32 v0, vcc, s4, v60
	v_addc_co_u32_e32 v1, vcc, v1, v61, vcc
	global_load_dwordx4 v[2:5], v[0:1], off
	ds_read_b64 v[0:1], v10 offset:29128
	ds_read_b64 v[11:12], v252 offset:8
	v_add_f64 v[13:14], v[6:7], v[8:9]
	v_add_f64 v[8:9], v[6:7], -v[8:9]
	s_waitcnt lgkmcnt(0)
	v_add_f64 v[15:16], v[0:1], v[11:12]
	v_add_f64 v[0:1], v[11:12], -v[0:1]
	s_waitcnt vmcnt(0)
	v_fma_f64 v[6:7], -v[8:9], v[4:5], v[13:14]
	v_fma_f64 v[11:12], v[15:16], v[4:5], -v[0:1]
	v_fma_f64 v[13:14], v[8:9], v[4:5], v[13:14]
	v_fma_f64 v[17:18], v[15:16], v[4:5], v[0:1]
	;; [unrolled: 1-line block ×4, first 2 shown]
	v_fma_f64 v[0:1], -v[15:16], v[2:3], v[13:14]
	v_fma_f64 v[2:3], v[8:9], v[2:3], v[17:18]
	ds_write_b128 v10, v[4:7] offset:29120
.LBB0_15:
	s_andn2_saveexec_b64 s[2:3], s[2:3]
	s_cbranch_execz .LBB0_17
; %bb.16:
	v_mov_b32_e32 v8, 0
	ds_read_b128 v[4:7], v8 offset:14560
	s_waitcnt lgkmcnt(0)
	v_add_f64 v[4:5], v[4:5], v[4:5]
	v_mul_f64 v[6:7], v[6:7], -2.0
	ds_write_b128 v8, v[4:7] offset:14560
.LBB0_17:
	s_or_b64 exec, exec, s[2:3]
	v_mov_b32_e32 v59, 0
	v_lshlrev_b64 v[62:63], 4, v[58:59]
	v_mov_b32_e32 v4, s5
	v_add_co_u32_e32 v8, vcc, s4, v62
	v_addc_co_u32_e32 v9, vcc, v4, v63, vcc
	global_load_dwordx4 v[4:7], v[8:9], off offset:2912
	s_movk_i32 s2, 0x1000
	v_add_co_u32_e32 v11, vcc, s2, v8
	v_addc_co_u32_e32 v12, vcc, 0, v9, vcc
	global_load_dwordx4 v[11:14], v[11:12], off offset:1728
	s_movk_i32 s2, 0x2000
	v_add_co_u32_e32 v23, vcc, s2, v8
	ds_write_b128 v252, v[0:3]
	v_addc_co_u32_e32 v24, vcc, 0, v9, vcc
	ds_read_b128 v[0:3], v252 offset:2912
	ds_read_b128 v[15:18], v10 offset:26208
	global_load_dwordx4 v[19:22], v[23:24], off offset:544
	s_mov_b32 s10, 0x134454ff
	s_mov_b32 s11, 0xbfee6f0e
	;; [unrolled: 1-line block ×3, first 2 shown]
	s_waitcnt lgkmcnt(0)
	v_add_f64 v[8:9], v[0:1], v[15:16]
	v_add_f64 v[25:26], v[17:18], v[2:3]
	v_add_f64 v[15:16], v[0:1], -v[15:16]
	v_add_f64 v[0:1], v[2:3], -v[17:18]
	s_mov_b32 s4, s10
	s_mov_b32 s14, 0x4755a5e
	s_mov_b32 s15, 0xbfe2cf23
	s_mov_b32 s7, 0x3fe2cf23
	s_mov_b32 s6, s14
	s_mov_b32 s2, 0x372fe950
	s_mov_b32 s3, 0x3fd3c6ef
	s_mov_b32 s16, 0x9b97f4a8
	s_mov_b32 s17, 0x3fe9e377
	s_mov_b32 s19, 0xbfd3c6ef
	s_mov_b32 s21, 0xbfe9e377
	s_mov_b32 s18, s2
	s_mov_b32 s20, s16
	s_waitcnt vmcnt(2)
	v_fma_f64 v[2:3], v[15:16], v[6:7], v[8:9]
	v_fma_f64 v[17:18], v[25:26], v[6:7], v[0:1]
	v_fma_f64 v[8:9], -v[15:16], v[6:7], v[8:9]
	v_fma_f64 v[27:28], v[25:26], v[6:7], -v[0:1]
	v_fma_f64 v[0:1], -v[25:26], v[4:5], v[2:3]
	v_fma_f64 v[2:3], v[15:16], v[4:5], v[17:18]
	v_fma_f64 v[6:7], v[25:26], v[4:5], v[8:9]
	;; [unrolled: 1-line block ×3, first 2 shown]
	ds_write_b128 v252, v[0:3] offset:2912
	ds_write_b128 v10, v[6:9] offset:26208
	ds_read_b128 v[0:3], v252 offset:5824
	ds_read_b128 v[4:7], v10 offset:23296
	global_load_dwordx4 v[15:18], v[23:24], off offset:3456
	s_waitcnt lgkmcnt(0)
	v_add_f64 v[8:9], v[0:1], v[4:5]
	v_add_f64 v[23:24], v[6:7], v[2:3]
	v_add_f64 v[25:26], v[0:1], -v[4:5]
	v_add_f64 v[0:1], v[2:3], -v[6:7]
	s_waitcnt vmcnt(2)
	v_fma_f64 v[2:3], v[25:26], v[13:14], v[8:9]
	v_fma_f64 v[4:5], v[23:24], v[13:14], v[0:1]
	v_fma_f64 v[6:7], -v[25:26], v[13:14], v[8:9]
	v_fma_f64 v[8:9], v[23:24], v[13:14], -v[0:1]
	v_fma_f64 v[0:1], -v[23:24], v[11:12], v[2:3]
	v_fma_f64 v[2:3], v[25:26], v[11:12], v[4:5]
	v_fma_f64 v[4:5], v[23:24], v[11:12], v[6:7]
	;; [unrolled: 1-line block ×3, first 2 shown]
	ds_write_b128 v252, v[0:3] offset:5824
	ds_write_b128 v10, v[4:7] offset:23296
	ds_read_b128 v[0:3], v252 offset:8736
	ds_read_b128 v[4:7], v10 offset:20384
	s_waitcnt lgkmcnt(0)
	v_add_f64 v[8:9], v[0:1], v[4:5]
	v_add_f64 v[11:12], v[6:7], v[2:3]
	v_add_f64 v[13:14], v[0:1], -v[4:5]
	v_add_f64 v[0:1], v[2:3], -v[6:7]
	s_waitcnt vmcnt(1)
	v_fma_f64 v[2:3], v[13:14], v[21:22], v[8:9]
	v_fma_f64 v[4:5], v[11:12], v[21:22], v[0:1]
	v_fma_f64 v[6:7], -v[13:14], v[21:22], v[8:9]
	v_fma_f64 v[8:9], v[11:12], v[21:22], -v[0:1]
	v_fma_f64 v[0:1], -v[11:12], v[19:20], v[2:3]
	v_fma_f64 v[2:3], v[13:14], v[19:20], v[4:5]
	v_fma_f64 v[4:5], v[11:12], v[19:20], v[6:7]
	;; [unrolled: 1-line block ×3, first 2 shown]
	ds_write_b128 v252, v[0:3] offset:8736
	ds_write_b128 v10, v[4:7] offset:20384
	ds_read_b128 v[0:3], v252 offset:11648
	ds_read_b128 v[4:7], v10 offset:17472
	s_waitcnt lgkmcnt(0)
	v_add_f64 v[8:9], v[0:1], v[4:5]
	v_add_f64 v[11:12], v[6:7], v[2:3]
	v_add_f64 v[13:14], v[0:1], -v[4:5]
	v_add_f64 v[0:1], v[2:3], -v[6:7]
	s_waitcnt vmcnt(0)
	v_fma_f64 v[2:3], v[13:14], v[17:18], v[8:9]
	v_fma_f64 v[4:5], v[11:12], v[17:18], v[0:1]
	v_fma_f64 v[6:7], -v[13:14], v[17:18], v[8:9]
	v_fma_f64 v[8:9], v[11:12], v[17:18], -v[0:1]
	v_fma_f64 v[0:1], -v[11:12], v[15:16], v[2:3]
	v_fma_f64 v[2:3], v[13:14], v[15:16], v[4:5]
	v_fma_f64 v[4:5], v[11:12], v[15:16], v[6:7]
	;; [unrolled: 1-line block ×3, first 2 shown]
	ds_write_b128 v252, v[0:3] offset:11648
	ds_write_b128 v10, v[4:7] offset:17472
	s_waitcnt lgkmcnt(0)
	s_barrier
	s_barrier
	ds_read_b128 v[0:3], v252
	ds_read_b128 v[4:7], v252 offset:2912
	ds_read_b128 v[8:11], v252 offset:5824
	ds_read_b128 v[12:15], v252 offset:8736
	ds_read_b128 v[16:19], v252 offset:11648
	ds_read_b128 v[20:23], v252 offset:14560
	ds_read_b128 v[24:27], v252 offset:17472
	ds_read_b128 v[28:31], v252 offset:23296
	ds_read_b128 v[32:35], v252 offset:20384
	ds_read_b128 v[36:39], v252 offset:26208
	s_waitcnt lgkmcnt(7)
	v_add_f64 v[40:41], v[0:1], v[8:9]
	s_waitcnt lgkmcnt(3)
	v_add_f64 v[42:43], v[16:17], v[24:25]
	v_add_f64 v[48:49], v[8:9], -v[16:17]
	s_waitcnt lgkmcnt(2)
	v_add_f64 v[50:51], v[28:29], -v[24:25]
	v_add_f64 v[52:53], v[8:9], v[28:29]
	v_add_f64 v[54:55], v[16:17], -v[8:9]
	v_add_f64 v[64:65], v[24:25], -v[28:29]
	v_add_f64 v[66:67], v[2:3], v[10:11]
	v_add_f64 v[68:69], v[18:19], v[26:27]
	;; [unrolled: 1-line block ×4, first 2 shown]
	s_waitcnt lgkmcnt(1)
	v_add_f64 v[82:83], v[20:21], v[32:33]
	v_add_f64 v[98:99], v[6:7], v[14:15]
	;; [unrolled: 1-line block ×3, first 2 shown]
	s_waitcnt lgkmcnt(0)
	v_add_f64 v[108:109], v[14:15], v[38:39]
	v_add_f64 v[44:45], v[10:11], -v[30:31]
	v_add_f64 v[46:47], v[18:19], -v[26:27]
	;; [unrolled: 1-line block ×10, first 2 shown]
	v_add_f64 v[92:93], v[12:13], v[36:37]
	v_add_f64 v[94:95], v[20:21], -v[12:13]
	v_add_f64 v[12:13], v[12:13], -v[36:37]
	;; [unrolled: 1-line block ×5, first 2 shown]
	v_add_f64 v[16:17], v[40:41], v[16:17]
	v_fma_f64 v[40:41], v[42:43], -0.5, v[0:1]
	v_add_f64 v[42:43], v[48:49], v[50:51]
	v_fma_f64 v[0:1], v[52:53], -0.5, v[0:1]
	v_add_f64 v[48:49], v[54:55], v[64:65]
	v_add_f64 v[18:19], v[66:67], v[18:19]
	v_fma_f64 v[50:51], v[68:69], -0.5, v[2:3]
	v_fma_f64 v[2:3], v[76:77], -0.5, v[2:3]
	v_add_f64 v[20:21], v[80:81], v[20:21]
	v_fma_f64 v[54:55], v[82:83], -0.5, v[4:5]
	v_add_f64 v[22:23], v[98:99], v[22:23]
	v_fma_f64 v[68:69], v[100:101], -0.5, v[6:7]
	v_fma_f64 v[6:7], v[108:109], -0.5, v[6:7]
	v_add_f64 v[78:79], v[26:27], -v[30:31]
	v_add_f64 v[90:91], v[36:37], -v[32:33]
	;; [unrolled: 1-line block ×5, first 2 shown]
	v_add_f64 v[52:53], v[72:73], v[74:75]
	v_fma_f64 v[4:5], v[92:93], -0.5, v[4:5]
	v_add_f64 v[16:17], v[16:17], v[24:25]
	v_fma_f64 v[24:25], v[44:45], s[10:11], v[40:41]
	v_fma_f64 v[40:41], v[44:45], s[4:5], v[40:41]
	;; [unrolled: 1-line block ×4, first 2 shown]
	v_add_f64 v[18:19], v[18:19], v[26:27]
	v_fma_f64 v[26:27], v[8:9], s[4:5], v[50:51]
	v_fma_f64 v[76:77], v[70:71], s[10:11], v[2:3]
	;; [unrolled: 1-line block ×3, first 2 shown]
	v_add_f64 v[20:21], v[20:21], v[32:33]
	v_fma_f64 v[32:33], v[84:85], s[10:11], v[54:55]
	v_add_f64 v[22:23], v[22:23], v[34:35]
	v_fma_f64 v[34:35], v[12:13], s[4:5], v[68:69]
	v_fma_f64 v[68:69], v[12:13], s[10:11], v[68:69]
	;; [unrolled: 1-line block ×4, first 2 shown]
	v_add_f64 v[10:11], v[10:11], v[78:79]
	v_add_f64 v[64:65], v[88:89], v[90:91]
	v_add_f64 v[72:73], v[104:105], v[106:107]
	v_add_f64 v[14:15], v[14:15], v[110:111]
	v_fma_f64 v[50:51], v[8:9], s[10:11], v[50:51]
	v_fma_f64 v[54:55], v[84:85], s[4:5], v[54:55]
	;; [unrolled: 1-line block ×4, first 2 shown]
	v_add_f64 v[16:17], v[16:17], v[28:29]
	v_fma_f64 v[24:25], v[46:47], s[14:15], v[24:25]
	v_fma_f64 v[28:29], v[46:47], s[6:7], v[40:41]
	;; [unrolled: 1-line block ×7, first 2 shown]
	v_add_f64 v[8:9], v[20:21], v[36:37]
	v_fma_f64 v[20:21], v[86:87], s[14:15], v[32:33]
	v_add_f64 v[22:23], v[22:23], v[38:39]
	v_fma_f64 v[34:35], v[102:103], s[6:7], v[34:35]
	v_fma_f64 v[38:39], v[102:103], s[14:15], v[68:69]
	;; [unrolled: 1-line block ×4, first 2 shown]
	v_add_f64 v[66:67], v[94:95], v[96:97]
	v_add_f64 v[18:19], v[18:19], v[30:31]
	v_fma_f64 v[30:31], v[70:71], s[14:15], v[50:51]
	v_fma_f64 v[32:33], v[86:87], s[6:7], v[54:55]
	;; [unrolled: 1-line block ×17, first 2 shown]
	v_mul_f64 v[32:33], v[26:27], s[14:15]
	v_mul_f64 v[34:35], v[28:29], s[10:11]
	;; [unrolled: 1-line block ×8, first 2 shown]
	v_fma_f64 v[48:49], v[48:49], s[2:3], v[0:1]
	v_fma_f64 v[44:45], v[10:11], s[2:3], v[44:45]
	;; [unrolled: 1-line block ×11, first 2 shown]
	v_add_f64 v[0:1], v[16:17], v[8:9]
	v_add_f64 v[2:3], v[18:19], v[22:23]
	;; [unrolled: 1-line block ×10, first 2 shown]
	v_add_f64 v[24:25], v[16:17], -v[8:9]
	v_add_f64 v[20:21], v[12:13], -v[20:21]
	;; [unrolled: 1-line block ×10, first 2 shown]
	s_movk_i32 s2, 0x90
	v_mad_u32_u24 v8, v58, s2, v252
	s_movk_i32 s2, 0x8c
	v_cmp_gt_u32_e32 vcc, s2, v58
	s_barrier
	ds_write_b128 v8, v[0:3]
	ds_write_b128 v8, v[40:43] offset:16
	ds_write_b128 v8, v[36:39] offset:32
	;; [unrolled: 1-line block ×9, first 2 shown]
	s_waitcnt lgkmcnt(0)
	s_barrier
	s_waitcnt lgkmcnt(0)
                                        ; implicit-def: $vgpr50_vgpr51
                                        ; implicit-def: $vgpr46_vgpr47
                                        ; implicit-def: $vgpr10_vgpr11
	s_and_saveexec_b64 s[2:3], vcc
	s_cbranch_execz .LBB0_19
; %bb.18:
	ds_read_b128 v[0:3], v252
	ds_read_b128 v[40:43], v252 offset:2240
	ds_read_b128 v[36:39], v252 offset:4480
	;; [unrolled: 1-line block ×12, first 2 shown]
.LBB0_19:
	s_or_b64 exec, exec, s[2:3]
	s_movk_i32 s2, 0xcd
	v_mul_lo_u16_sdwa v52, v58, s2 dst_sel:DWORD dst_unused:UNUSED_PAD src0_sel:BYTE_0 src1_sel:DWORD
	v_lshrrev_b16_e32 v59, 11, v52
	v_mul_lo_u16_e32 v52, 10, v59
	v_sub_u16_e32 v253, v58, v52
	v_mov_b32_e32 v52, 12
	v_mul_u32_u24_sdwa v52, v253, v52 dst_sel:DWORD dst_unused:UNUSED_PAD src0_sel:BYTE_0 src1_sel:DWORD
	v_lshlrev_b32_e32 v56, 4, v52
	global_load_dwordx4 v[52:55], v56, s[8:9]
	global_load_dwordx4 v[64:67], v56, s[8:9] offset:16
	global_load_dwordx4 v[68:71], v56, s[8:9] offset:32
	;; [unrolled: 1-line block ×6, first 2 shown]
	s_mov_b32 s10, 0x4267c47c
	s_mov_b32 s11, 0xbfddbe06
	;; [unrolled: 1-line block ×36, first 2 shown]
	s_waitcnt vmcnt(6) lgkmcnt(11)
	v_mul_f64 v[76:77], v[42:43], v[54:55]
	v_mul_f64 v[54:55], v[40:41], v[54:55]
	v_fma_f64 v[40:41], v[40:41], v[52:53], v[76:77]
	global_load_dwordx4 v[76:79], v56, s[8:9] offset:64
	v_fma_f64 v[42:43], v[42:43], v[52:53], -v[54:55]
	s_waitcnt vmcnt(6) lgkmcnt(10)
	v_mul_f64 v[54:55], v[36:37], v[66:67]
	v_mul_f64 v[52:53], v[38:39], v[66:67]
	s_waitcnt vmcnt(3) lgkmcnt(6)
	v_mul_f64 v[66:67], v[22:23], v[82:83]
	v_fma_f64 v[38:39], v[38:39], v[64:65], -v[54:55]
	v_mul_f64 v[54:55], v[32:33], v[70:71]
	v_fma_f64 v[36:37], v[36:37], v[64:65], v[52:53]
	v_mul_f64 v[52:53], v[34:35], v[70:71]
	v_fma_f64 v[34:35], v[34:35], v[68:69], -v[54:55]
	v_mul_f64 v[54:55], v[28:29], v[74:75]
	v_fma_f64 v[32:33], v[32:33], v[68:69], v[52:53]
	v_mul_f64 v[52:53], v[30:31], v[74:75]
	v_mul_f64 v[68:69], v[20:21], v[82:83]
	v_fma_f64 v[30:31], v[30:31], v[72:73], -v[54:55]
	v_fma_f64 v[28:29], v[28:29], v[72:73], v[52:53]
	s_waitcnt vmcnt(0)
	v_mul_f64 v[64:65], v[26:27], v[78:79]
	v_mul_f64 v[54:55], v[24:25], v[78:79]
	v_fma_f64 v[52:53], v[24:25], v[76:77], v[64:65]
	v_fma_f64 v[54:55], v[26:27], v[76:77], -v[54:55]
	global_load_dwordx4 v[76:79], v56, s[8:9] offset:160
	global_load_dwordx4 v[24:27], v56, s[8:9] offset:176
	v_fma_f64 v[64:65], v[20:21], v[80:81], v[66:67]
	v_fma_f64 v[66:67], v[22:23], v[80:81], -v[68:69]
	s_waitcnt lgkmcnt(5)
	v_mul_f64 v[20:21], v[18:19], v[86:87]
	v_mul_f64 v[22:23], v[16:17], v[86:87]
	v_fma_f64 v[68:69], v[16:17], v[84:85], v[20:21]
	v_fma_f64 v[70:71], v[18:19], v[84:85], -v[22:23]
	global_load_dwordx4 v[16:19], v56, s[8:9] offset:128
	global_load_dwordx4 v[92:95], v56, s[8:9] offset:144
	s_waitcnt lgkmcnt(4)
	v_mul_f64 v[20:21], v[14:15], v[90:91]
	v_mul_f64 v[22:23], v[12:13], v[90:91]
	s_waitcnt vmcnt(0) lgkmcnt(0)
	s_barrier
	v_add_f64 v[152:153], v[64:65], v[68:69]
	v_add_f64 v[254:255], v[66:67], -v[70:71]
	v_add_f64 v[56:57], v[66:67], v[70:71]
	v_fma_f64 v[72:73], v[12:13], v[88:89], v[20:21]
	v_fma_f64 v[74:75], v[14:15], v[88:89], -v[22:23]
	v_add_f64 v[156:157], v[64:65], -v[68:69]
	v_mul_f64 v[120:121], v[254:255], s[26:27]
	v_mul_f64 v[126:127], v[56:57], s[28:29]
	v_add_f64 v[122:123], v[52:53], v[72:73]
	v_add_f64 v[194:195], v[54:55], -v[74:75]
	v_add_f64 v[192:193], v[54:55], v[74:75]
	v_add_f64 v[124:125], v[52:53], -v[72:73]
	v_mul_f64 v[138:139], v[254:255], s[30:31]
	v_mul_f64 v[150:151], v[56:57], s[2:3]
	;; [unrolled: 1-line block ×19, first 2 shown]
	v_fma_f64 v[50:51], v[50:51], v[24:25], -v[12:13]
	v_mul_f64 v[12:13], v[46:47], v[78:79]
	v_fma_f64 v[48:49], v[48:49], v[24:25], v[14:15]
	v_fma_f64 v[46:47], v[46:47], v[76:77], -v[20:21]
	v_mul_f64 v[14:15], v[6:7], v[18:19]
	v_mul_f64 v[24:25], v[8:9], v[94:95]
	;; [unrolled: 1-line block ×3, first 2 shown]
	v_add_f64 v[20:21], v[42:43], -v[50:51]
	v_fma_f64 v[44:45], v[44:45], v[76:77], v[12:13]
	v_add_f64 v[102:103], v[40:41], v[48:49]
	v_add_f64 v[140:141], v[38:39], -v[46:47]
	v_add_f64 v[22:23], v[42:43], v[50:51]
	v_mul_f64 v[12:13], v[10:11], v[94:95]
	v_fma_f64 v[76:77], v[4:5], v[16:17], v[14:15]
	v_fma_f64 v[86:87], v[10:11], v[92:93], -v[24:25]
	v_mul_f64 v[80:81], v[20:21], s[10:11]
	v_add_f64 v[100:101], v[36:37], v[44:45]
	v_add_f64 v[114:115], v[40:41], -v[48:49]
	v_mul_f64 v[82:83], v[140:141], s[4:5]
	v_mul_f64 v[88:89], v[22:23], s[2:3]
	v_add_f64 v[166:167], v[38:39], v[46:47]
	v_fma_f64 v[78:79], v[6:7], v[16:17], -v[18:19]
	v_fma_f64 v[84:85], v[8:9], v[92:93], v[12:13]
	v_fma_f64 v[4:5], v[102:103], s[2:3], -v[80:81]
	v_add_f64 v[112:113], v[36:37], -v[44:45]
	v_add_f64 v[178:179], v[34:35], -v[86:87]
	v_fma_f64 v[6:7], v[100:101], s[6:7], -v[82:83]
	v_fma_f64 v[8:9], v[114:115], s[10:11], v[88:89]
	v_mul_f64 v[90:91], v[166:167], s[6:7]
	v_add_f64 v[176:177], v[34:35], v[86:87]
	v_add_f64 v[108:109], v[32:33], v[84:85]
	;; [unrolled: 1-line block ×3, first 2 shown]
	v_add_f64 v[110:111], v[32:33], -v[84:85]
	v_mul_f64 v[92:93], v[178:179], s[16:17]
	v_add_f64 v[186:187], v[30:31], -v[78:79]
	v_add_f64 v[116:117], v[28:29], v[76:77]
	v_add_f64 v[184:185], v[30:31], v[78:79]
	v_mul_f64 v[94:95], v[176:177], s[14:15]
	v_add_f64 v[118:119], v[28:29], -v[76:77]
	v_add_f64 v[4:5], v[6:7], v[4:5]
	v_add_f64 v[6:7], v[2:3], v[8:9]
	v_fma_f64 v[8:9], v[112:113], s[4:5], v[90:91]
	v_mul_f64 v[96:97], v[186:187], s[20:21]
	v_mul_f64 v[128:129], v[20:21], s[4:5]
	;; [unrolled: 1-line block ×7, first 2 shown]
	v_add_f64 v[6:7], v[8:9], v[6:7]
	v_fma_f64 v[8:9], v[108:109], s[14:15], -v[92:93]
	v_mul_f64 v[144:145], v[176:177], s[28:29]
	v_mul_f64 v[134:135], v[186:187], s[36:37]
	v_fma_f64 v[10:11], v[100:101], s[18:19], -v[130:131]
	v_mul_f64 v[146:147], v[184:185], s[22:23]
	v_fma_f64 v[12:13], v[112:113], s[20:21], v[142:143]
	v_mul_f64 v[160:161], v[20:21], s[16:17]
	v_mul_f64 v[158:159], v[140:141], s[26:27]
	v_add_f64 v[4:5], v[8:9], v[4:5]
	v_fma_f64 v[8:9], v[110:111], s[16:17], v[94:95]
	v_mul_f64 v[188:189], v[22:23], s[14:15]
	v_mul_f64 v[190:191], v[166:167], s[28:29]
	v_mul_f64 v[162:163], v[178:179], s[40:41]
	v_mul_f64 v[170:171], v[176:177], s[18:19]
	v_mul_f64 v[164:165], v[186:187], s[30:31]
	v_fma_f64 v[14:15], v[100:101], s[28:29], -v[158:159]
	v_mul_f64 v[174:175], v[184:185], s[2:3]
	v_add_f64 v[6:7], v[8:9], v[6:7]
	v_fma_f64 v[8:9], v[116:117], s[18:19], -v[96:97]
	v_fma_f64 v[16:17], v[112:113], s[26:27], v[190:191]
	v_mul_f64 v[206:207], v[20:21], s[20:21]
	v_mul_f64 v[202:203], v[140:141], s[36:37]
	;; [unrolled: 1-line block ×6, first 2 shown]
	v_add_f64 v[4:5], v[8:9], v[4:5]
	v_fma_f64 v[8:9], v[118:119], s[20:21], v[98:99]
	v_mul_f64 v[198:199], v[186:187], s[16:17]
	v_fma_f64 v[18:19], v[100:101], s[22:23], -v[202:203]
	v_mul_f64 v[214:215], v[184:185], s[14:15]
	v_fma_f64 v[24:25], v[112:113], s[36:37], v[216:217]
	v_mul_f64 v[230:231], v[20:21], s[24:25]
	v_mul_f64 v[220:221], v[140:141], s[34:35]
	v_mul_f64 v[240:241], v[22:23], s[22:23]
	v_add_f64 v[6:7], v[8:9], v[6:7]
	v_fma_f64 v[8:9], v[122:123], s[22:23], -v[104:105]
	v_mul_f64 v[242:243], v[166:167], s[14:15]
	v_mul_f64 v[238:239], v[176:177], s[6:7]
	;; [unrolled: 1-line block ×4, first 2 shown]
	v_fma_f64 v[26:27], v[100:101], s[14:15], -v[220:221]
	v_mul_f64 v[140:141], v[140:141], s[30:31]
	v_mul_f64 v[250:251], v[22:23], s[28:29]
	v_add_f64 v[4:5], v[8:9], v[4:5]
	v_fma_f64 v[8:9], v[124:125], s[24:25], v[106:107]
	v_fma_f64 v[222:223], v[112:113], s[34:35], v[242:243]
	v_mul_f64 v[248:249], v[176:177], s[22:23]
	v_fma_f64 v[20:21], v[102:103], s[28:29], -v[246:247]
	v_fma_f64 v[22:23], v[114:115], s[26:27], v[250:251]
	v_add_f64 v[6:7], v[8:9], v[6:7]
	v_fma_f64 v[8:9], v[152:153], s[28:29], -v[120:121]
	v_add_f64 v[20:21], v[0:1], v[20:21]
	v_add_f64 v[22:23], v[2:3], v[22:23]
	;; [unrolled: 1-line block ×3, first 2 shown]
	v_fma_f64 v[8:9], v[156:157], s[26:27], v[126:127]
	v_add_f64 v[6:7], v[8:9], v[6:7]
	v_fma_f64 v[8:9], v[102:103], s[6:7], -v[128:129]
	v_add_f64 v[8:9], v[0:1], v[8:9]
	v_add_f64 v[8:9], v[10:11], v[8:9]
	v_fma_f64 v[10:11], v[114:115], s[4:5], v[154:155]
	v_add_f64 v[10:11], v[2:3], v[10:11]
	v_add_f64 v[10:11], v[12:13], v[10:11]
	v_fma_f64 v[12:13], v[108:109], s[28:29], -v[132:133]
	v_add_f64 v[8:9], v[12:13], v[8:9]
	v_fma_f64 v[12:13], v[110:111], s[26:27], v[144:145]
	v_add_f64 v[10:11], v[12:13], v[10:11]
	v_fma_f64 v[12:13], v[116:117], s[22:23], -v[134:135]
	v_add_f64 v[8:9], v[12:13], v[8:9]
	v_fma_f64 v[12:13], v[118:119], s[36:37], v[146:147]
	v_add_f64 v[10:11], v[12:13], v[10:11]
	v_fma_f64 v[12:13], v[122:123], s[14:15], -v[136:137]
	v_add_f64 v[8:9], v[12:13], v[8:9]
	v_fma_f64 v[12:13], v[124:125], s[34:35], v[148:149]
	v_add_f64 v[10:11], v[12:13], v[10:11]
	v_fma_f64 v[12:13], v[152:153], s[2:3], -v[138:139]
	v_add_f64 v[8:9], v[12:13], v[8:9]
	v_fma_f64 v[12:13], v[156:157], s[30:31], v[150:151]
	v_add_f64 v[10:11], v[12:13], v[10:11]
	v_fma_f64 v[12:13], v[102:103], s[14:15], -v[160:161]
	v_add_f64 v[12:13], v[0:1], v[12:13]
	v_add_f64 v[12:13], v[14:15], v[12:13]
	v_fma_f64 v[14:15], v[114:115], s[16:17], v[188:189]
	v_add_f64 v[14:15], v[2:3], v[14:15]
	v_add_f64 v[14:15], v[16:17], v[14:15]
	v_fma_f64 v[16:17], v[108:109], s[18:19], -v[162:163]
	v_add_f64 v[12:13], v[16:17], v[12:13]
	v_fma_f64 v[16:17], v[110:111], s[40:41], v[170:171]
	v_add_f64 v[14:15], v[16:17], v[14:15]
	v_fma_f64 v[16:17], v[116:117], s[2:3], -v[164:165]
	v_add_f64 v[12:13], v[16:17], v[12:13]
	v_fma_f64 v[16:17], v[118:119], s[30:31], v[174:175]
	v_add_f64 v[14:15], v[16:17], v[14:15]
	v_fma_f64 v[16:17], v[122:123], s[6:7], -v[168:169]
	v_add_f64 v[12:13], v[16:17], v[12:13]
	v_fma_f64 v[16:17], v[124:125], s[4:5], v[182:183]
	v_add_f64 v[14:15], v[16:17], v[14:15]
	v_fma_f64 v[16:17], v[152:153], s[22:23], -v[172:173]
	v_add_f64 v[12:13], v[16:17], v[12:13]
	;; [unrolled: 22-line block ×3, first 2 shown]
	v_fma_f64 v[24:25], v[156:157], s[44:45], v[218:219]
	v_add_f64 v[18:19], v[24:25], v[18:19]
	v_fma_f64 v[24:25], v[102:103], s[22:23], -v[230:231]
	v_add_f64 v[24:25], v[0:1], v[24:25]
	v_add_f64 v[24:25], v[26:27], v[24:25]
	v_fma_f64 v[26:27], v[114:115], s[24:25], v[240:241]
	v_add_f64 v[26:27], v[2:3], v[26:27]
	v_add_f64 v[26:27], v[222:223], v[26:27]
	v_mul_f64 v[222:223], v[178:179], s[4:5]
	v_mul_f64 v[178:179], v[178:179], s[24:25]
	v_fma_f64 v[224:225], v[108:109], s[6:7], -v[222:223]
	v_add_f64 v[24:25], v[224:225], v[24:25]
	v_fma_f64 v[224:225], v[110:111], s[4:5], v[238:239]
	v_add_f64 v[26:27], v[224:225], v[26:27]
	v_mul_f64 v[224:225], v[186:187], s[42:43]
	v_fma_f64 v[226:227], v[116:117], s[28:29], -v[224:225]
	v_add_f64 v[24:25], v[226:227], v[24:25]
	v_fma_f64 v[226:227], v[118:119], s[42:43], v[232:233]
	v_add_f64 v[26:27], v[226:227], v[26:27]
	;; [unrolled: 5-line block ×3, first 2 shown]
	v_mul_f64 v[228:229], v[254:255], s[20:21]
	v_fma_f64 v[236:237], v[152:153], s[18:19], -v[228:229]
	v_add_f64 v[24:25], v[236:237], v[24:25]
	v_mul_f64 v[236:237], v[56:57], s[18:19]
	v_fma_f64 v[244:245], v[156:157], s[20:21], v[236:237]
	v_add_f64 v[26:27], v[244:245], v[26:27]
	v_fma_f64 v[244:245], v[100:101], s[2:3], -v[140:141]
	v_add_f64 v[20:21], v[244:245], v[20:21]
	v_mul_f64 v[244:245], v[166:167], s[2:3]
	v_fma_f64 v[166:167], v[112:113], s[30:31], v[244:245]
	v_add_f64 v[22:23], v[166:167], v[22:23]
	v_fma_f64 v[166:167], v[108:109], s[22:23], -v[178:179]
	v_add_f64 v[20:21], v[166:167], v[20:21]
	v_fma_f64 v[166:167], v[110:111], s[24:25], v[248:249]
	v_add_f64 v[22:23], v[166:167], v[22:23]
	v_mul_f64 v[166:167], v[186:187], s[44:45]
	v_mul_f64 v[186:187], v[184:185], s[6:7]
	v_fma_f64 v[176:177], v[116:117], s[6:7], -v[166:167]
	v_add_f64 v[20:21], v[176:177], v[20:21]
	v_fma_f64 v[176:177], v[118:119], s[44:45], v[186:187]
	v_add_f64 v[22:23], v[176:177], v[22:23]
	v_mul_f64 v[176:177], v[194:195], s[20:21]
	v_mul_f64 v[194:195], v[56:57], s[14:15]
	v_fma_f64 v[184:185], v[122:123], s[18:19], -v[176:177]
	v_add_f64 v[20:21], v[184:185], v[20:21]
	v_fma_f64 v[184:185], v[124:125], s[20:21], v[192:193]
	v_add_f64 v[22:23], v[184:185], v[22:23]
	v_mul_f64 v[184:185], v[254:255], s[34:35]
	v_fma_f64 v[56:57], v[152:153], s[14:15], -v[184:185]
	v_add_f64 v[20:21], v[56:57], v[20:21]
	v_fma_f64 v[56:57], v[156:157], s[34:35], v[194:195]
	v_add_f64 v[22:23], v[56:57], v[22:23]
	s_and_saveexec_b64 s[38:39], vcc
	s_cbranch_execz .LBB0_21
; %bb.20:
	v_mul_f64 v[56:57], v[156:157], s[34:35]
	v_add_f64 v[42:43], v[2:3], v[42:43]
	v_add_f64 v[40:41], v[0:1], v[40:41]
	v_add_f64 v[56:57], v[194:195], -v[56:57]
	v_mul_f64 v[194:195], v[124:125], s[20:21]
	v_add_f64 v[38:39], v[42:43], v[38:39]
	v_add_f64 v[36:37], v[40:41], v[36:37]
	v_add_f64 v[192:193], v[192:193], -v[194:195]
	;; [unrolled: 4-line block ×4, first 2 shown]
	v_mul_f64 v[250:251], v[102:103], s[28:29]
	v_add_f64 v[30:31], v[30:31], v[54:55]
	v_add_f64 v[28:29], v[28:29], v[52:53]
	;; [unrolled: 1-line block ×4, first 2 shown]
	v_mul_f64 v[250:251], v[112:113], s[30:31]
	v_add_f64 v[30:31], v[30:31], v[66:67]
	v_add_f64 v[28:29], v[28:29], v[64:65]
	v_add_f64 v[244:245], v[244:245], -v[250:251]
	v_mul_f64 v[250:251], v[110:111], s[24:25]
	v_add_f64 v[30:31], v[30:31], v[70:71]
	v_add_f64 v[28:29], v[28:29], v[68:69]
	;; [unrolled: 1-line block ×3, first 2 shown]
	v_add_f64 v[248:249], v[248:249], -v[250:251]
	v_mul_f64 v[250:251], v[100:101], s[2:3]
	v_add_f64 v[244:245], v[0:1], v[246:247]
	v_mul_f64 v[246:247], v[112:113], s[34:35]
	v_add_f64 v[30:31], v[30:31], v[74:75]
	v_add_f64 v[28:29], v[28:29], v[72:73]
	;; [unrolled: 1-line block ×4, first 2 shown]
	v_mul_f64 v[250:251], v[152:153], s[14:15]
	v_add_f64 v[242:243], v[242:243], -v[246:247]
	v_mul_f64 v[246:247], v[102:103], s[2:3]
	v_mul_f64 v[248:249], v[110:111], s[40:41]
	v_add_f64 v[30:31], v[30:31], v[78:79]
	v_add_f64 v[28:29], v[28:29], v[76:77]
	;; [unrolled: 1-line block ×5, first 2 shown]
	v_mul_f64 v[250:251], v[108:109], s[22:23]
	v_mul_f64 v[244:245], v[122:123], s[18:19]
	;; [unrolled: 1-line block ×3, first 2 shown]
	v_add_f64 v[30:31], v[30:31], v[86:87]
	v_add_f64 v[28:29], v[28:29], v[84:85]
	;; [unrolled: 1-line block ×3, first 2 shown]
	v_mul_f64 v[192:193], v[108:109], s[6:7]
	v_add_f64 v[178:179], v[250:251], v[178:179]
	v_add_f64 v[176:177], v[244:245], v[176:177]
	v_mul_f64 v[244:245], v[116:117], s[6:7]
	v_mul_f64 v[250:251], v[118:119], s[20:21]
	v_add_f64 v[46:47], v[30:31], v[46:47]
	v_add_f64 v[28:29], v[28:29], v[44:45]
	;; [unrolled: 1-line block ×3, first 2 shown]
	v_mul_f64 v[222:223], v[116:117], s[28:29]
	v_add_f64 v[140:141], v[178:179], v[140:141]
	v_mul_f64 v[178:179], v[102:103], s[22:23]
	v_add_f64 v[166:167], v[244:245], v[166:167]
	;; [unrolled: 2-line block ×4, first 2 shown]
	v_mul_f64 v[230:231], v[100:101], s[14:15]
	v_add_f64 v[240:241], v[240:241], -v[244:245]
	v_mul_f64 v[244:245], v[110:111], s[4:5]
	v_add_f64 v[140:141], v[166:167], v[140:141]
	v_mul_f64 v[166:167], v[102:103], s[6:7]
	v_add_f64 v[224:225], v[224:225], v[226:227]
	v_add_f64 v[178:179], v[0:1], v[178:179]
	;; [unrolled: 1-line block ×4, first 2 shown]
	v_add_f64 v[238:239], v[238:239], -v[244:245]
	v_mul_f64 v[230:231], v[118:119], s[42:43]
	v_mul_f64 v[244:245], v[114:115], s[4:5]
	v_add_f64 v[140:141], v[176:177], v[140:141]
	v_mul_f64 v[176:177], v[102:103], s[14:15]
	v_mul_f64 v[102:103], v[102:103], s[18:19]
	v_add_f64 v[178:179], v[220:221], v[178:179]
	v_add_f64 v[240:241], v[242:243], v[240:241]
	v_mul_f64 v[242:243], v[114:115], s[16:17]
	v_mul_f64 v[114:115], v[114:115], s[20:21]
	v_add_f64 v[220:221], v[232:233], -v[230:231]
	v_mul_f64 v[230:231], v[124:125], s[30:31]
	v_mul_f64 v[232:233], v[100:101], s[6:7]
	;; [unrolled: 1-line block ×3, first 2 shown]
	v_add_f64 v[178:179], v[192:193], v[178:179]
	v_add_f64 v[238:239], v[238:239], v[240:241]
	v_mul_f64 v[192:193], v[156:157], s[20:21]
	v_mul_f64 v[240:241], v[112:113], s[4:5]
	v_add_f64 v[114:115], v[210:211], -v[114:115]
	v_add_f64 v[230:231], v[234:235], -v[230:231]
	v_mul_f64 v[234:235], v[100:101], s[18:19]
	v_mul_f64 v[210:211], v[110:111], s[30:31]
	v_add_f64 v[178:179], v[222:223], v[178:179]
	v_add_f64 v[220:221], v[220:221], v[238:239]
	v_mul_f64 v[238:239], v[112:113], s[20:21]
	v_add_f64 v[192:193], v[236:237], -v[192:193]
	v_mul_f64 v[236:237], v[112:113], s[26:27]
	v_mul_f64 v[112:113], v[112:113], s[36:37]
	v_mul_f64 v[222:223], v[100:101], s[28:29]
	v_mul_f64 v[100:101], v[100:101], s[22:23]
	v_add_f64 v[102:103], v[102:103], v[206:207]
	v_add_f64 v[220:221], v[230:231], v[220:221]
	v_mul_f64 v[230:231], v[156:157], s[44:45]
	v_add_f64 v[114:115], v[2:3], v[114:115]
	v_add_f64 v[226:227], v[226:227], v[228:229]
	v_add_f64 v[112:113], v[216:217], -v[112:113]
	v_mul_f64 v[228:229], v[108:109], s[14:15]
	v_add_f64 v[178:179], v[224:225], v[178:179]
	v_mul_f64 v[224:225], v[110:111], s[16:17]
	v_mul_f64 v[216:217], v[110:111], s[26:27]
	v_add_f64 v[218:219], v[218:219], -v[230:231]
	v_mul_f64 v[230:231], v[108:109], s[28:29]
	v_mul_f64 v[206:207], v[108:109], s[18:19]
	v_add_f64 v[210:211], v[212:213], -v[210:211]
	v_mul_f64 v[212:213], v[118:119], s[16:17]
	v_mul_f64 v[108:109], v[108:109], s[2:3]
	v_add_f64 v[100:101], v[100:101], v[202:203]
	v_add_f64 v[102:103], v[0:1], v[102:103]
	;; [unrolled: 1-line block ×3, first 2 shown]
	v_mul_f64 v[202:203], v[116:117], s[18:19]
	v_add_f64 v[160:161], v[176:177], v[160:161]
	v_add_f64 v[142:143], v[142:143], -v[238:239]
	v_add_f64 v[112:113], v[214:215], -v[212:213]
	v_mul_f64 v[212:213], v[116:117], s[22:23]
	v_add_f64 v[108:109], v[108:109], v[208:209]
	v_add_f64 v[114:115], v[100:101], v[102:103]
	v_mul_f64 v[214:215], v[116:117], s[2:3]
	v_mul_f64 v[116:117], v[116:117], s[14:15]
	v_add_f64 v[102:103], v[56:57], v[186:187]
	v_mul_f64 v[56:57], v[124:125], s[42:43]
	v_add_f64 v[110:111], v[210:211], v[110:111]
	v_mul_f64 v[186:187], v[122:123], s[28:29]
	v_mul_f64 v[208:209], v[118:119], s[36:37]
	v_add_f64 v[108:109], v[108:109], v[114:115]
	v_mul_f64 v[114:115], v[152:153], s[6:7]
	v_add_f64 v[116:117], v[116:117], v[198:199]
	v_mul_f64 v[118:119], v[118:119], s[30:31]
	v_add_f64 v[56:57], v[204:205], -v[56:57]
	v_add_f64 v[110:111], v[112:113], v[110:111]
	v_add_f64 v[112:113], v[186:187], v[200:201]
	;; [unrolled: 1-line block ×3, first 2 shown]
	v_mul_f64 v[184:185], v[124:125], s[24:25]
	v_mul_f64 v[204:205], v[124:125], s[34:35]
	v_add_f64 v[108:109], v[116:117], v[108:109]
	v_add_f64 v[116:117], v[188:189], -v[242:243]
	v_mul_f64 v[124:125], v[124:125], s[4:5]
	v_add_f64 v[56:57], v[56:57], v[110:111]
	v_add_f64 v[110:111], v[192:193], v[220:221]
	;; [unrolled: 1-line block ×3, first 2 shown]
	v_add_f64 v[40:41], v[174:175], -v[118:119]
	v_add_f64 v[42:43], v[222:223], v[158:159]
	v_add_f64 v[112:113], v[112:113], v[108:109]
	;; [unrolled: 1-line block ×3, first 2 shown]
	v_add_f64 v[178:179], v[190:191], -v[236:237]
	v_add_f64 v[116:117], v[2:3], v[116:117]
	v_add_f64 v[114:115], v[218:219], v[56:57]
	v_add_f64 v[56:57], v[154:155], -v[244:245]
	v_add_f64 v[154:155], v[170:171], -v[248:249]
	v_add_f64 v[118:119], v[0:1], v[160:161]
	v_add_f64 v[144:145], v[144:145], -v[216:217]
	v_add_f64 v[36:37], v[182:183], -v[124:125]
	v_add_f64 v[38:39], v[206:207], v[162:163]
	v_add_f64 v[116:117], v[178:179], v[116:117]
	;; [unrolled: 1-line block ×6, first 2 shown]
	v_add_f64 v[68:69], v[94:95], -v[224:225]
	v_add_f64 v[70:71], v[228:229], v[92:93]
	v_mul_f64 v[140:141], v[122:123], s[22:23]
	v_add_f64 v[116:117], v[154:155], v[116:117]
	v_mul_f64 v[198:199], v[122:123], s[14:15]
	;; [unrolled: 2-line block ×3, first 2 shown]
	v_add_f64 v[38:39], v[38:39], v[42:43]
	v_add_f64 v[34:35], v[214:215], v[164:165]
	v_mul_f64 v[186:187], v[156:157], s[26:27]
	v_mul_f64 v[200:201], v[156:157], s[30:31]
	v_add_f64 v[40:41], v[40:41], v[116:117]
	v_add_f64 v[116:117], v[146:147], -v[208:209]
	v_add_f64 v[56:57], v[144:145], v[56:57]
	v_mul_f64 v[156:157], v[156:157], s[24:25]
	v_mul_f64 v[210:211], v[152:153], s[28:29]
	;; [unrolled: 1-line block ×4, first 2 shown]
	v_add_f64 v[54:55], v[122:123], v[168:169]
	v_add_f64 v[36:37], v[36:37], v[40:41]
	v_add_f64 v[40:41], v[148:149], -v[204:205]
	v_add_f64 v[42:43], v[116:117], v[56:57]
	v_add_f64 v[56:57], v[88:89], -v[194:195]
	;; [unrolled: 2-line block ×3, first 2 shown]
	v_add_f64 v[38:39], v[150:151], -v[200:201]
	v_add_f64 v[72:73], v[210:211], v[120:121]
	v_add_f64 v[52:53], v[152:153], v[172:173]
	;; [unrolled: 1-line block ×5, first 2 shown]
	v_add_f64 v[80:81], v[90:91], -v[240:241]
	v_add_f64 v[2:3], v[2:3], v[56:57]
	v_add_f64 v[56:57], v[232:233], v[82:83]
	;; [unrolled: 1-line block ×9, first 2 shown]
	v_mov_b32_e32 v41, 4
	v_mul_u32_u24_e32 v40, 0x820, v59
	v_lshlrev_b32_sdwa v41, v41, v253 dst_sel:DWORD dst_unused:UNUSED_PAD src0_sel:DWORD src1_sel:BYTE_0
	v_add_f64 v[42:43], v[56:57], v[42:43]
	v_add_f64 v[0:1], v[66:67], v[0:1]
	v_add_f64 v[66:67], v[98:99], -v[250:251]
	v_add_f64 v[2:3], v[68:69], v[2:3]
	v_add_f64 v[68:69], v[202:203], v[96:97]
	;; [unrolled: 1-line block ×3, first 2 shown]
	v_add3_u32 v40, 0, v40, v41
	v_add_f64 v[42:43], v[70:71], v[42:43]
	v_add_f64 v[0:1], v[64:65], v[0:1]
	v_add_f64 v[70:71], v[106:107], -v[184:185]
	v_add_f64 v[2:3], v[66:67], v[2:3]
	v_add_f64 v[66:67], v[140:141], v[104:105]
	;; [unrolled: 1-line block ×5, first 2 shown]
	v_add_f64 v[68:69], v[126:127], -v[186:187]
	v_add_f64 v[70:71], v[70:71], v[2:3]
	v_add_f64 v[56:57], v[188:189], v[138:139]
	;; [unrolled: 1-line block ×10, first 2 shown]
	ds_write_b128 v40, v[36:39]
	ds_write_b128 v40, v[32:35] offset:160
	ds_write_b128 v40, v[28:31] offset:320
	;; [unrolled: 1-line block ×12, first 2 shown]
.LBB0_21:
	s_or_b64 exec, exec, s[38:39]
	s_waitcnt lgkmcnt(0)
	s_barrier
	ds_read_b128 v[28:31], v252
	ds_read_b128 v[48:51], v252 offset:4160
	ds_read_b128 v[44:47], v252 offset:8320
	ds_read_b128 v[36:39], v252 offset:12480
	ds_read_b128 v[32:35], v252 offset:16640
	ds_read_b128 v[40:43], v252 offset:20800
	ds_read_b128 v[52:55], v252 offset:24960
	s_movk_i32 s2, 0x4e
	v_cmp_gt_u32_e32 vcc, s2, v58
                                        ; implicit-def: $vgpr2_vgpr3
	s_and_saveexec_b64 s[2:3], vcc
	s_cbranch_execz .LBB0_23
; %bb.22:
	ds_read_b128 v[20:23], v252 offset:2912
	ds_read_b128 v[24:27], v252 offset:7072
	;; [unrolled: 1-line block ×7, first 2 shown]
.LBB0_23:
	s_or_b64 exec, exec, s[2:3]
	s_movk_i32 s2, 0x82
	v_add_u32_e32 v56, 0xffffff7e, v58
	v_cmp_gt_u32_e64 s[2:3], s2, v58
	v_cndmask_b32_e64 v59, v56, v58, s[2:3]
	v_mul_i32_i24_e32 v56, 6, v59
	v_mov_b32_e32 v57, 0
	v_lshlrev_b64 v[56:57], 4, v[56:57]
	v_mov_b32_e32 v64, s9
	v_add_co_u32_e64 v56, s[2:3], s8, v56
	v_addc_co_u32_e64 v57, s[2:3], v64, v57, s[2:3]
	global_load_dwordx4 v[64:67], v[56:57], off offset:1920
	global_load_dwordx4 v[68:71], v[56:57], off offset:1936
	;; [unrolled: 1-line block ×6, first 2 shown]
	s_movk_i32 s2, 0x81
	v_mov_b32_e32 v56, 0x38e0
	v_cmp_lt_u32_e64 s[2:3], s2, v58
	v_cndmask_b32_e64 v56, 0, v56, s[2:3]
	v_lshlrev_b32_e32 v57, 4, v59
	v_add3_u32 v59, 0, v56, v57
	s_mov_b32 s10, 0x37e14327
	s_mov_b32 s14, 0x36b3c0b5
	;; [unrolled: 1-line block ×20, first 2 shown]
	s_waitcnt vmcnt(0) lgkmcnt(0)
	s_barrier
	v_mul_f64 v[56:57], v[50:51], v[66:67]
	v_mul_f64 v[66:67], v[48:49], v[66:67]
	v_mul_f64 v[88:89], v[46:47], v[70:71]
	v_mul_f64 v[70:71], v[44:45], v[70:71]
	v_mul_f64 v[94:95], v[54:55], v[82:83]
	v_mul_f64 v[82:83], v[52:53], v[82:83]
	v_mul_f64 v[96:97], v[42:43], v[86:87]
	v_mul_f64 v[86:87], v[40:41], v[86:87]
	v_mul_f64 v[90:91], v[38:39], v[74:75]
	v_mul_f64 v[74:75], v[36:37], v[74:75]
	v_mul_f64 v[92:93], v[34:35], v[78:79]
	v_mul_f64 v[78:79], v[32:33], v[78:79]
	v_fma_f64 v[48:49], v[48:49], v[64:65], v[56:57]
	v_fma_f64 v[50:51], v[50:51], v[64:65], -v[66:67]
	v_fma_f64 v[44:45], v[44:45], v[68:69], v[88:89]
	v_fma_f64 v[46:47], v[46:47], v[68:69], -v[70:71]
	;; [unrolled: 2-line block ×6, first 2 shown]
	v_add_f64 v[56:57], v[48:49], v[52:53]
	v_add_f64 v[64:65], v[50:51], v[54:55]
	v_add_f64 v[48:49], v[48:49], -v[52:53]
	v_add_f64 v[50:51], v[50:51], -v[54:55]
	v_add_f64 v[52:53], v[44:45], v[40:41]
	v_add_f64 v[54:55], v[46:47], v[42:43]
	v_add_f64 v[40:41], v[44:45], -v[40:41]
	v_add_f64 v[42:43], v[46:47], -v[42:43]
	;; [unrolled: 4-line block ×4, first 2 shown]
	v_add_f64 v[56:57], v[56:57], -v[44:45]
	v_add_f64 v[64:65], v[64:65], -v[46:47]
	;; [unrolled: 1-line block ×4, first 2 shown]
	v_add_f64 v[70:71], v[32:33], v[40:41]
	v_add_f64 v[72:73], v[34:35], v[42:43]
	v_add_f64 v[74:75], v[32:33], -v[40:41]
	v_add_f64 v[76:77], v[34:35], -v[42:43]
	v_add_f64 v[36:37], v[44:45], v[36:37]
	v_add_f64 v[38:39], v[46:47], v[38:39]
	v_add_f64 v[40:41], v[40:41], -v[48:49]
	v_add_f64 v[42:43], v[42:43], -v[50:51]
	v_add_f64 v[32:33], v[48:49], -v[32:33]
	v_add_f64 v[34:35], v[50:51], -v[34:35]
	v_add_f64 v[44:45], v[70:71], v[48:49]
	v_add_f64 v[46:47], v[72:73], v[50:51]
	v_mul_f64 v[48:49], v[56:57], s[10:11]
	v_mul_f64 v[50:51], v[64:65], s[10:11]
	;; [unrolled: 1-line block ×6, first 2 shown]
	v_add_f64 v[28:29], v[28:29], v[36:37]
	v_add_f64 v[30:31], v[30:31], v[38:39]
	v_mul_f64 v[74:75], v[40:41], s[4:5]
	v_mul_f64 v[76:77], v[42:43], s[4:5]
	v_fma_f64 v[52:53], v[52:53], s[14:15], v[48:49]
	v_fma_f64 v[54:55], v[54:55], s[14:15], v[50:51]
	v_fma_f64 v[56:57], v[66:67], s[16:17], -v[56:57]
	v_fma_f64 v[64:65], v[68:69], s[16:17], -v[64:65]
	;; [unrolled: 1-line block ×4, first 2 shown]
	v_fma_f64 v[66:67], v[32:33], s[24:25], v[70:71]
	v_fma_f64 v[68:69], v[34:35], s[24:25], v[72:73]
	;; [unrolled: 1-line block ×4, first 2 shown]
	v_fma_f64 v[32:33], v[32:33], s[26:27], -v[74:75]
	v_fma_f64 v[34:35], v[34:35], s[26:27], -v[76:77]
	;; [unrolled: 1-line block ×4, first 2 shown]
	v_fma_f64 v[66:67], v[44:45], s[20:21], v[66:67]
	v_fma_f64 v[68:69], v[46:47], s[20:21], v[68:69]
	v_add_f64 v[52:53], v[52:53], v[36:37]
	v_add_f64 v[54:55], v[54:55], v[38:39]
	v_fma_f64 v[74:75], v[44:45], s[20:21], v[32:33]
	v_fma_f64 v[76:77], v[46:47], s[20:21], v[34:35]
	v_add_f64 v[48:49], v[48:49], v[36:37]
	v_add_f64 v[50:51], v[50:51], v[38:39]
	;; [unrolled: 4-line block ×3, first 2 shown]
	v_add_f64 v[32:33], v[68:69], v[52:53]
	v_add_f64 v[34:35], v[54:55], -v[66:67]
	v_add_f64 v[36:37], v[76:77], v[48:49]
	v_add_f64 v[38:39], v[50:51], -v[74:75]
	v_add_f64 v[48:49], v[48:49], -v[76:77]
	v_add_f64 v[50:51], v[74:75], v[50:51]
	v_add_f64 v[40:41], v[44:45], -v[72:73]
	v_add_f64 v[42:43], v[70:71], v[46:47]
	v_add_f64 v[44:45], v[72:73], v[44:45]
	v_add_f64 v[46:47], v[46:47], -v[70:71]
	v_add_f64 v[52:53], v[52:53], -v[68:69]
	v_add_f64 v[54:55], v[66:67], v[54:55]
	ds_write_b128 v59, v[28:31]
	ds_write_b128 v59, v[32:35] offset:2080
	ds_write_b128 v59, v[36:39] offset:4160
	;; [unrolled: 1-line block ×6, first 2 shown]
	s_and_saveexec_b64 s[2:3], vcc
	s_cbranch_execz .LBB0_25
; %bb.24:
	v_add_u32_e32 v28, 0xb6, v58
	s_movk_i32 s28, 0xfc1
	v_mul_u32_u24_sdwa v29, v28, s28 dst_sel:DWORD dst_unused:UNUSED_PAD src0_sel:WORD_0 src1_sel:DWORD
	v_lshrrev_b32_e32 v29, 19, v29
	v_mul_lo_u16_e32 v29, 0x82, v29
	v_sub_u16_e32 v59, v28, v29
	v_mul_u32_u24_e32 v28, 6, v59
	v_lshlrev_b32_e32 v52, 4, v28
	global_load_dwordx4 v[28:31], v52, s[8:9] offset:1968
	global_load_dwordx4 v[32:35], v52, s[8:9] offset:1952
	;; [unrolled: 1-line block ×6, first 2 shown]
	s_waitcnt vmcnt(5)
	v_mul_f64 v[52:53], v[10:11], v[30:31]
	s_waitcnt vmcnt(4)
	v_mul_f64 v[54:55], v[14:15], v[34:35]
	;; [unrolled: 2-line block ×6, first 2 shown]
	v_mul_f64 v[38:39], v[16:17], v[38:39]
	v_mul_f64 v[42:43], v[4:5], v[42:43]
	v_mul_f64 v[46:47], v[24:25], v[46:47]
	v_mul_f64 v[50:51], v[0:1], v[50:51]
	v_mul_f64 v[34:35], v[12:13], v[34:35]
	v_mul_f64 v[30:31], v[8:9], v[30:31]
	v_fma_f64 v[16:17], v[16:17], v[36:37], v[56:57]
	v_fma_f64 v[4:5], v[4:5], v[40:41], v[64:65]
	v_fma_f64 v[24:25], v[24:25], v[44:45], v[66:67]
	v_fma_f64 v[0:1], v[0:1], v[48:49], v[68:69]
	v_fma_f64 v[18:19], v[18:19], v[36:37], -v[38:39]
	v_fma_f64 v[6:7], v[6:7], v[40:41], -v[42:43]
	;; [unrolled: 1-line block ×4, first 2 shown]
	v_fma_f64 v[8:9], v[8:9], v[28:29], v[52:53]
	v_fma_f64 v[12:13], v[12:13], v[32:33], v[54:55]
	v_fma_f64 v[14:15], v[14:15], v[32:33], -v[34:35]
	v_fma_f64 v[10:11], v[10:11], v[28:29], -v[30:31]
	v_add_f64 v[30:31], v[16:17], -v[4:5]
	v_add_f64 v[32:33], v[24:25], -v[0:1]
	v_add_f64 v[36:37], v[18:19], v[6:7]
	v_add_f64 v[38:39], v[26:27], v[2:3]
	;; [unrolled: 1-line block ×4, first 2 shown]
	v_add_f64 v[28:29], v[8:9], -v[12:13]
	v_add_f64 v[34:35], v[14:15], v[10:11]
	v_add_f64 v[8:9], v[12:13], v[8:9]
	v_add_f64 v[10:11], v[10:11], -v[14:15]
	v_add_f64 v[6:7], v[18:19], -v[6:7]
	;; [unrolled: 1-line block ×3, first 2 shown]
	v_add_f64 v[26:27], v[36:37], v[38:39]
	v_add_f64 v[42:43], v[4:5], v[0:1]
	;; [unrolled: 1-line block ×3, first 2 shown]
	v_add_f64 v[14:15], v[28:29], -v[30:31]
	v_add_f64 v[16:17], v[32:33], -v[28:29]
	;; [unrolled: 1-line block ×5, first 2 shown]
	v_add_f64 v[44:45], v[10:11], v[6:7]
	v_add_f64 v[46:47], v[10:11], -v[6:7]
	v_add_f64 v[30:31], v[30:31], -v[32:33]
	v_add_f64 v[26:27], v[34:35], v[26:27]
	v_add_f64 v[8:9], v[8:9], v[42:43]
	v_add_f64 v[18:19], v[34:35], -v[36:37]
	v_add_f64 v[6:7], v[6:7], -v[2:3]
	;; [unrolled: 1-line block ×5, first 2 shown]
	v_mul_f64 v[14:15], v[14:15], s[18:19]
	v_mul_f64 v[24:25], v[24:25], s[10:11]
	;; [unrolled: 1-line block ×3, first 2 shown]
	v_add_f64 v[40:41], v[44:45], v[2:3]
	v_mul_f64 v[42:43], v[46:47], s[18:19]
	v_mul_f64 v[44:45], v[30:31], s[4:5]
	v_add_f64 v[2:3], v[22:23], v[26:27]
	v_add_f64 v[0:1], v[20:21], v[8:9]
	;; [unrolled: 1-line block ×3, first 2 shown]
	v_mul_f64 v[32:33], v[18:19], s[14:15]
	v_mul_f64 v[46:47], v[6:7], s[4:5]
	;; [unrolled: 1-line block ×3, first 2 shown]
	v_fma_f64 v[48:49], v[16:17], s[24:25], v[14:15]
	v_fma_f64 v[18:19], v[18:19], s[14:15], v[24:25]
	;; [unrolled: 1-line block ×4, first 2 shown]
	v_fma_f64 v[16:17], v[16:17], s[26:27], -v[44:45]
	v_fma_f64 v[24:25], v[36:37], s[22:23], -v[24:25]
	v_fma_f64 v[26:27], v[26:27], s[6:7], v[2:3]
	v_fma_f64 v[8:9], v[8:9], s[6:7], v[0:1]
	v_fma_f64 v[28:29], v[4:5], s[22:23], -v[38:39]
	v_fma_f64 v[10:11], v[10:11], s[26:27], -v[46:47]
	;; [unrolled: 1-line block ×6, first 2 shown]
	v_fma_f64 v[30:31], v[12:13], s[20:21], v[48:49]
	v_fma_f64 v[34:35], v[40:41], s[20:21], v[20:21]
	;; [unrolled: 1-line block ×3, first 2 shown]
	v_add_f64 v[20:21], v[18:19], v[26:27]
	v_add_f64 v[24:25], v[24:25], v[26:27]
	;; [unrolled: 1-line block ×4, first 2 shown]
	v_fma_f64 v[32:33], v[40:41], s[20:21], v[10:11]
	v_add_f64 v[28:29], v[28:29], v[8:9]
	v_fma_f64 v[12:13], v[12:13], s[20:21], v[14:15]
	v_fma_f64 v[36:37], v[40:41], s[20:21], v[6:7]
	v_add_f64 v[4:5], v[4:5], v[8:9]
	v_add_f64 v[10:11], v[16:17], v[24:25]
	v_add_f64 v[22:23], v[24:25], -v[16:17]
	v_add_f64 v[26:27], v[20:21], -v[30:31]
	v_add_f64 v[24:25], v[34:35], v[38:39]
	v_add_f64 v[6:7], v[30:31], v[20:21]
	;; [unrolled: 1-line block ×3, first 2 shown]
	v_add_f64 v[14:15], v[18:19], -v[12:13]
	v_add_f64 v[18:19], v[12:13], v[18:19]
	v_add_f64 v[16:17], v[4:5], -v[36:37]
	v_add_f64 v[12:13], v[36:37], v[4:5]
	v_add_f64 v[8:9], v[28:29], -v[32:33]
	v_add_f64 v[4:5], v[38:39], -v[34:35]
	v_lshl_add_u32 v28, v59, 4, 0
	ds_write_b128 v28, v[0:3] offset:14560
	ds_write_b128 v28, v[24:27] offset:16640
	ds_write_b128 v28, v[20:23] offset:18720
	ds_write_b128 v28, v[16:19] offset:20800
	ds_write_b128 v28, v[12:15] offset:22880
	ds_write_b128 v28, v[8:11] offset:24960
	ds_write_b128 v28, v[4:7] offset:27040
.LBB0_25:
	s_or_b64 exec, exec, s[2:3]
	v_mov_b32_e32 v0, s9
	v_add_co_u32_e32 v1, vcc, s8, v60
	v_addc_co_u32_e32 v2, vcc, v0, v61, vcc
	s_movk_i32 s2, 0x3000
	v_add_co_u32_e32 v8, vcc, s2, v1
	v_addc_co_u32_e32 v9, vcc, 0, v2, vcc
	v_add_co_u32_e32 v20, vcc, s8, v62
	v_addc_co_u32_e32 v21, vcc, v0, v63, vcc
	s_movk_i32 s2, 0x4000
	v_add_co_u32_e32 v16, vcc, s2, v20
	v_addc_co_u32_e32 v17, vcc, 0, v21, vcc
	s_movk_i32 s2, 0x5000
	;; [unrolled: 3-line block ×3, first 2 shown]
	s_waitcnt lgkmcnt(0)
	s_barrier
	global_load_dwordx4 v[0:3], v[8:9], off offset:2112
	global_load_dwordx4 v[4:7], v[16:17], off offset:928
	s_nop 0
	global_load_dwordx4 v[8:11], v[16:17], off offset:3840
	global_load_dwordx4 v[12:15], v[18:19], off offset:2656
	v_add_co_u32_e32 v16, vcc, s2, v20
	v_addc_co_u32_e32 v17, vcc, 0, v21, vcc
	global_load_dwordx4 v[16:19], v[16:17], off offset:1472
	ds_read_b128 v[20:23], v252
	ds_read_b128 v[24:27], v252 offset:2912
	ds_read_b128 v[28:31], v252 offset:17472
	;; [unrolled: 1-line block ×9, first 2 shown]
	s_waitcnt vmcnt(0) lgkmcnt(0)
	s_barrier
	v_mul_f64 v[56:57], v[46:47], v[2:3]
	v_mul_f64 v[2:3], v[44:45], v[2:3]
	;; [unrolled: 1-line block ×10, first 2 shown]
	v_fma_f64 v[44:45], v[44:45], v[0:1], v[56:57]
	v_fma_f64 v[2:3], v[46:47], v[0:1], -v[2:3]
	v_fma_f64 v[28:29], v[28:29], v[4:5], v[63:64]
	v_fma_f64 v[6:7], v[30:31], v[4:5], -v[6:7]
	;; [unrolled: 2-line block ×5, first 2 shown]
	v_add_f64 v[0:1], v[20:21], -v[44:45]
	v_add_f64 v[2:3], v[22:23], -v[2:3]
	;; [unrolled: 1-line block ×10, first 2 shown]
	v_fma_f64 v[20:21], v[20:21], 2.0, -v[0:1]
	v_fma_f64 v[22:23], v[22:23], 2.0, -v[2:3]
	;; [unrolled: 1-line block ×10, first 2 shown]
	ds_write_b128 v252, v[0:3] offset:14560
	ds_write_b128 v252, v[4:7] offset:17472
	;; [unrolled: 1-line block ×5, first 2 shown]
	ds_write_b128 v252, v[20:23]
	ds_write_b128 v252, v[24:27] offset:2912
	ds_write_b128 v252, v[28:31] offset:5824
	;; [unrolled: 1-line block ×4, first 2 shown]
	s_waitcnt lgkmcnt(0)
	s_barrier
	s_and_saveexec_b64 s[2:3], s[0:1]
	s_cbranch_execz .LBB0_27
; %bb.26:
	v_lshl_add_u32 v10, v58, 4, 0
	ds_read_b128 v[0:3], v10
	buffer_load_dword v5, off, s[48:51], 0  ; 4-byte Folded Reload
	buffer_load_dword v6, off, s[48:51], 0 offset:4 ; 4-byte Folded Reload
	v_mov_b32_e32 v59, 0
	v_mov_b32_e32 v4, s13
	s_waitcnt vmcnt(1)
	v_add_co_u32_e32 v11, vcc, s12, v5
	s_waitcnt vmcnt(0)
	v_addc_co_u32_e32 v12, vcc, v4, v6, vcc
	v_lshlrev_b64 v[4:5], 4, v[58:59]
	v_add_co_u32_e32 v8, vcc, v11, v4
	v_addc_co_u32_e32 v9, vcc, v12, v5, vcc
	ds_read_b128 v[4:7], v10 offset:2912
	s_waitcnt lgkmcnt(1)
	global_store_dwordx4 v[8:9], v[0:3], off
	s_nop 0
	v_add_u32_e32 v0, 0xb6, v58
	v_mov_b32_e32 v1, v59
	v_lshlrev_b64 v[0:1], 4, v[0:1]
	v_add_co_u32_e32 v0, vcc, v11, v0
	v_addc_co_u32_e32 v1, vcc, v12, v1, vcc
	s_waitcnt lgkmcnt(0)
	global_store_dwordx4 v[0:1], v[4:7], off
	ds_read_b128 v[0:3], v10 offset:5824
	v_add_u32_e32 v4, 0x16c, v58
	v_mov_b32_e32 v5, v59
	v_lshlrev_b64 v[4:5], 4, v[4:5]
	v_add_co_u32_e32 v8, vcc, v11, v4
	v_addc_co_u32_e32 v9, vcc, v12, v5, vcc
	ds_read_b128 v[4:7], v10 offset:8736
	s_waitcnt lgkmcnt(1)
	global_store_dwordx4 v[8:9], v[0:3], off
	s_nop 0
	v_add_u32_e32 v0, 0x222, v58
	v_mov_b32_e32 v1, v59
	v_lshlrev_b64 v[0:1], 4, v[0:1]
	v_add_co_u32_e32 v0, vcc, v11, v0
	v_addc_co_u32_e32 v1, vcc, v12, v1, vcc
	s_waitcnt lgkmcnt(0)
	global_store_dwordx4 v[0:1], v[4:7], off
	ds_read_b128 v[0:3], v10 offset:11648
	v_add_u32_e32 v4, 0x2d8, v58
	v_mov_b32_e32 v5, v59
	;; [unrolled: 17-line block ×4, first 2 shown]
	v_lshlrev_b64 v[4:5], 4, v[4:5]
	v_add_u32_e32 v58, 0x666, v58
	v_add_co_u32_e32 v8, vcc, v11, v4
	v_addc_co_u32_e32 v9, vcc, v12, v5, vcc
	ds_read_b128 v[4:7], v10 offset:26208
	s_waitcnt lgkmcnt(1)
	global_store_dwordx4 v[8:9], v[0:3], off
	s_nop 0
	v_lshlrev_b64 v[0:1], 4, v[58:59]
	v_add_co_u32_e32 v0, vcc, v11, v0
	v_addc_co_u32_e32 v1, vcc, v12, v1, vcc
	s_waitcnt lgkmcnt(0)
	global_store_dwordx4 v[0:1], v[4:7], off
.LBB0_27:
	s_endpgm
	.section	.rodata,"a",@progbits
	.p2align	6, 0x0
	.amdhsa_kernel fft_rtc_back_len1820_factors_10_13_7_2_wgs_182_tpt_182_halfLds_dp_ip_CI_unitstride_sbrr_C2R_dirReg
		.amdhsa_group_segment_fixed_size 0
		.amdhsa_private_segment_fixed_size 12
		.amdhsa_kernarg_size 88
		.amdhsa_user_sgpr_count 6
		.amdhsa_user_sgpr_private_segment_buffer 1
		.amdhsa_user_sgpr_dispatch_ptr 0
		.amdhsa_user_sgpr_queue_ptr 0
		.amdhsa_user_sgpr_kernarg_segment_ptr 1
		.amdhsa_user_sgpr_dispatch_id 0
		.amdhsa_user_sgpr_flat_scratch_init 0
		.amdhsa_user_sgpr_private_segment_size 0
		.amdhsa_uses_dynamic_stack 0
		.amdhsa_system_sgpr_private_segment_wavefront_offset 1
		.amdhsa_system_sgpr_workgroup_id_x 1
		.amdhsa_system_sgpr_workgroup_id_y 0
		.amdhsa_system_sgpr_workgroup_id_z 0
		.amdhsa_system_sgpr_workgroup_info 0
		.amdhsa_system_vgpr_workitem_id 0
		.amdhsa_next_free_vgpr 256
		.amdhsa_next_free_sgpr 52
		.amdhsa_reserve_vcc 1
		.amdhsa_reserve_flat_scratch 0
		.amdhsa_float_round_mode_32 0
		.amdhsa_float_round_mode_16_64 0
		.amdhsa_float_denorm_mode_32 3
		.amdhsa_float_denorm_mode_16_64 3
		.amdhsa_dx10_clamp 1
		.amdhsa_ieee_mode 1
		.amdhsa_fp16_overflow 0
		.amdhsa_exception_fp_ieee_invalid_op 0
		.amdhsa_exception_fp_denorm_src 0
		.amdhsa_exception_fp_ieee_div_zero 0
		.amdhsa_exception_fp_ieee_overflow 0
		.amdhsa_exception_fp_ieee_underflow 0
		.amdhsa_exception_fp_ieee_inexact 0
		.amdhsa_exception_int_div_zero 0
	.end_amdhsa_kernel
	.text
.Lfunc_end0:
	.size	fft_rtc_back_len1820_factors_10_13_7_2_wgs_182_tpt_182_halfLds_dp_ip_CI_unitstride_sbrr_C2R_dirReg, .Lfunc_end0-fft_rtc_back_len1820_factors_10_13_7_2_wgs_182_tpt_182_halfLds_dp_ip_CI_unitstride_sbrr_C2R_dirReg
                                        ; -- End function
	.section	.AMDGPU.csdata,"",@progbits
; Kernel info:
; codeLenInByte = 12496
; NumSgprs: 56
; NumVgprs: 256
; ScratchSize: 12
; MemoryBound: 0
; FloatMode: 240
; IeeeMode: 1
; LDSByteSize: 0 bytes/workgroup (compile time only)
; SGPRBlocks: 6
; VGPRBlocks: 63
; NumSGPRsForWavesPerEU: 56
; NumVGPRsForWavesPerEU: 256
; Occupancy: 1
; WaveLimiterHint : 1
; COMPUTE_PGM_RSRC2:SCRATCH_EN: 1
; COMPUTE_PGM_RSRC2:USER_SGPR: 6
; COMPUTE_PGM_RSRC2:TRAP_HANDLER: 0
; COMPUTE_PGM_RSRC2:TGID_X_EN: 1
; COMPUTE_PGM_RSRC2:TGID_Y_EN: 0
; COMPUTE_PGM_RSRC2:TGID_Z_EN: 0
; COMPUTE_PGM_RSRC2:TIDIG_COMP_CNT: 0
	.type	__hip_cuid_7e49ac297b4172a1,@object ; @__hip_cuid_7e49ac297b4172a1
	.section	.bss,"aw",@nobits
	.globl	__hip_cuid_7e49ac297b4172a1
__hip_cuid_7e49ac297b4172a1:
	.byte	0                               ; 0x0
	.size	__hip_cuid_7e49ac297b4172a1, 1

	.ident	"AMD clang version 19.0.0git (https://github.com/RadeonOpenCompute/llvm-project roc-6.4.0 25133 c7fe45cf4b819c5991fe208aaa96edf142730f1d)"
	.section	".note.GNU-stack","",@progbits
	.addrsig
	.addrsig_sym __hip_cuid_7e49ac297b4172a1
	.amdgpu_metadata
---
amdhsa.kernels:
  - .args:
      - .actual_access:  read_only
        .address_space:  global
        .offset:         0
        .size:           8
        .value_kind:     global_buffer
      - .offset:         8
        .size:           8
        .value_kind:     by_value
      - .actual_access:  read_only
        .address_space:  global
        .offset:         16
        .size:           8
        .value_kind:     global_buffer
      - .actual_access:  read_only
        .address_space:  global
        .offset:         24
        .size:           8
        .value_kind:     global_buffer
      - .offset:         32
        .size:           8
        .value_kind:     by_value
      - .actual_access:  read_only
        .address_space:  global
        .offset:         40
        .size:           8
        .value_kind:     global_buffer
      - .actual_access:  read_only
        .address_space:  global
        .offset:         48
        .size:           8
        .value_kind:     global_buffer
      - .offset:         56
        .size:           4
        .value_kind:     by_value
      - .actual_access:  read_only
        .address_space:  global
        .offset:         64
        .size:           8
        .value_kind:     global_buffer
      - .actual_access:  read_only
        .address_space:  global
        .offset:         72
        .size:           8
        .value_kind:     global_buffer
      - .address_space:  global
        .offset:         80
        .size:           8
        .value_kind:     global_buffer
    .group_segment_fixed_size: 0
    .kernarg_segment_align: 8
    .kernarg_segment_size: 88
    .language:       OpenCL C
    .language_version:
      - 2
      - 0
    .max_flat_workgroup_size: 182
    .name:           fft_rtc_back_len1820_factors_10_13_7_2_wgs_182_tpt_182_halfLds_dp_ip_CI_unitstride_sbrr_C2R_dirReg
    .private_segment_fixed_size: 12
    .sgpr_count:     56
    .sgpr_spill_count: 0
    .symbol:         fft_rtc_back_len1820_factors_10_13_7_2_wgs_182_tpt_182_halfLds_dp_ip_CI_unitstride_sbrr_C2R_dirReg.kd
    .uniform_work_group_size: 1
    .uses_dynamic_stack: false
    .vgpr_count:     256
    .vgpr_spill_count: 2
    .wavefront_size: 64
amdhsa.target:   amdgcn-amd-amdhsa--gfx906
amdhsa.version:
  - 1
  - 2
...

	.end_amdgpu_metadata
